;; amdgpu-corpus repo=ROCm/rocFFT kind=compiled arch=gfx906 opt=O3
	.text
	.amdgcn_target "amdgcn-amd-amdhsa--gfx906"
	.amdhsa_code_object_version 6
	.protected	fft_rtc_back_len416_factors_13_2_16_wgs_64_tpt_32_dp_ip_CI_sbrr_dirReg ; -- Begin function fft_rtc_back_len416_factors_13_2_16_wgs_64_tpt_32_dp_ip_CI_sbrr_dirReg
	.globl	fft_rtc_back_len416_factors_13_2_16_wgs_64_tpt_32_dp_ip_CI_sbrr_dirReg
	.p2align	8
	.type	fft_rtc_back_len416_factors_13_2_16_wgs_64_tpt_32_dp_ip_CI_sbrr_dirReg,@function
fft_rtc_back_len416_factors_13_2_16_wgs_64_tpt_32_dp_ip_CI_sbrr_dirReg: ; @fft_rtc_back_len416_factors_13_2_16_wgs_64_tpt_32_dp_ip_CI_sbrr_dirReg
; %bb.0:
	s_load_dwordx2 s[14:15], s[4:5], 0x18
	s_load_dwordx4 s[8:11], s[4:5], 0x0
	s_load_dwordx2 s[12:13], s[4:5], 0x50
	v_lshrrev_b32_e32 v1, 5, v0
	v_lshl_or_b32 v5, s6, 1, v1
	s_waitcnt lgkmcnt(0)
	s_load_dwordx2 s[2:3], s[14:15], 0x0
	v_cmp_lt_u64_e64 s[0:1], s[10:11], 2
	v_mov_b32_e32 v3, 0
	v_mov_b32_e32 v1, 0
	;; [unrolled: 1-line block ×3, first 2 shown]
	s_and_b64 vcc, exec, s[0:1]
	v_mov_b32_e32 v2, 0
	s_cbranch_vccnz .LBB0_8
; %bb.1:
	s_load_dwordx2 s[0:1], s[4:5], 0x10
	s_add_u32 s6, s14, 8
	s_addc_u32 s7, s15, 0
	v_mov_b32_e32 v1, 0
	v_mov_b32_e32 v2, 0
	s_waitcnt lgkmcnt(0)
	s_add_u32 s16, s0, 8
	s_addc_u32 s17, s1, 0
	s_mov_b64 s[18:19], 1
.LBB0_2:                                ; =>This Inner Loop Header: Depth=1
	s_load_dwordx2 s[20:21], s[16:17], 0x0
                                        ; implicit-def: $vgpr7_vgpr8
	s_waitcnt lgkmcnt(0)
	v_or_b32_e32 v4, s21, v6
	v_cmp_ne_u64_e32 vcc, 0, v[3:4]
	s_and_saveexec_b64 s[0:1], vcc
	s_xor_b64 s[22:23], exec, s[0:1]
	s_cbranch_execz .LBB0_4
; %bb.3:                                ;   in Loop: Header=BB0_2 Depth=1
	v_cvt_f32_u32_e32 v4, s20
	v_cvt_f32_u32_e32 v7, s21
	s_sub_u32 s0, 0, s20
	s_subb_u32 s1, 0, s21
	v_mac_f32_e32 v4, 0x4f800000, v7
	v_rcp_f32_e32 v4, v4
	v_mul_f32_e32 v4, 0x5f7ffffc, v4
	v_mul_f32_e32 v7, 0x2f800000, v4
	v_trunc_f32_e32 v7, v7
	v_mac_f32_e32 v4, 0xcf800000, v7
	v_cvt_u32_f32_e32 v7, v7
	v_cvt_u32_f32_e32 v4, v4
	v_mul_lo_u32 v8, s0, v7
	v_mul_hi_u32 v9, s0, v4
	v_mul_lo_u32 v11, s1, v4
	v_mul_lo_u32 v10, s0, v4
	v_add_u32_e32 v8, v9, v8
	v_add_u32_e32 v8, v8, v11
	v_mul_hi_u32 v9, v4, v10
	v_mul_lo_u32 v11, v4, v8
	v_mul_hi_u32 v13, v4, v8
	v_mul_hi_u32 v12, v7, v10
	v_mul_lo_u32 v10, v7, v10
	v_mul_hi_u32 v14, v7, v8
	v_add_co_u32_e32 v9, vcc, v9, v11
	v_addc_co_u32_e32 v11, vcc, 0, v13, vcc
	v_mul_lo_u32 v8, v7, v8
	v_add_co_u32_e32 v9, vcc, v9, v10
	v_addc_co_u32_e32 v9, vcc, v11, v12, vcc
	v_addc_co_u32_e32 v10, vcc, 0, v14, vcc
	v_add_co_u32_e32 v8, vcc, v9, v8
	v_addc_co_u32_e32 v9, vcc, 0, v10, vcc
	v_add_co_u32_e32 v4, vcc, v4, v8
	v_addc_co_u32_e32 v7, vcc, v7, v9, vcc
	v_mul_lo_u32 v8, s0, v7
	v_mul_hi_u32 v9, s0, v4
	v_mul_lo_u32 v10, s1, v4
	v_mul_lo_u32 v11, s0, v4
	v_add_u32_e32 v8, v9, v8
	v_add_u32_e32 v8, v8, v10
	v_mul_lo_u32 v12, v4, v8
	v_mul_hi_u32 v13, v4, v11
	v_mul_hi_u32 v14, v4, v8
	;; [unrolled: 1-line block ×3, first 2 shown]
	v_mul_lo_u32 v11, v7, v11
	v_mul_hi_u32 v9, v7, v8
	v_add_co_u32_e32 v12, vcc, v13, v12
	v_addc_co_u32_e32 v13, vcc, 0, v14, vcc
	v_mul_lo_u32 v8, v7, v8
	v_add_co_u32_e32 v11, vcc, v12, v11
	v_addc_co_u32_e32 v10, vcc, v13, v10, vcc
	v_addc_co_u32_e32 v9, vcc, 0, v9, vcc
	v_add_co_u32_e32 v8, vcc, v10, v8
	v_addc_co_u32_e32 v9, vcc, 0, v9, vcc
	v_add_co_u32_e32 v4, vcc, v4, v8
	v_addc_co_u32_e32 v9, vcc, v7, v9, vcc
	v_mad_u64_u32 v[7:8], s[0:1], v5, v9, 0
	v_mul_hi_u32 v10, v5, v4
	v_add_co_u32_e32 v11, vcc, v10, v7
	v_addc_co_u32_e32 v12, vcc, 0, v8, vcc
	v_mad_u64_u32 v[7:8], s[0:1], v6, v4, 0
	v_mad_u64_u32 v[9:10], s[0:1], v6, v9, 0
	v_add_co_u32_e32 v4, vcc, v11, v7
	v_addc_co_u32_e32 v4, vcc, v12, v8, vcc
	v_addc_co_u32_e32 v7, vcc, 0, v10, vcc
	v_add_co_u32_e32 v4, vcc, v4, v9
	v_addc_co_u32_e32 v9, vcc, 0, v7, vcc
	v_mul_lo_u32 v10, s21, v4
	v_mul_lo_u32 v11, s20, v9
	v_mad_u64_u32 v[7:8], s[0:1], s20, v4, 0
	v_add3_u32 v8, v8, v11, v10
	v_sub_u32_e32 v10, v6, v8
	v_mov_b32_e32 v11, s21
	v_sub_co_u32_e32 v7, vcc, v5, v7
	v_subb_co_u32_e64 v10, s[0:1], v10, v11, vcc
	v_subrev_co_u32_e64 v11, s[0:1], s20, v7
	v_subbrev_co_u32_e64 v10, s[0:1], 0, v10, s[0:1]
	v_cmp_le_u32_e64 s[0:1], s21, v10
	v_cndmask_b32_e64 v12, 0, -1, s[0:1]
	v_cmp_le_u32_e64 s[0:1], s20, v11
	v_cndmask_b32_e64 v11, 0, -1, s[0:1]
	v_cmp_eq_u32_e64 s[0:1], s21, v10
	v_cndmask_b32_e64 v10, v12, v11, s[0:1]
	v_add_co_u32_e64 v11, s[0:1], 2, v4
	v_addc_co_u32_e64 v12, s[0:1], 0, v9, s[0:1]
	v_add_co_u32_e64 v13, s[0:1], 1, v4
	v_addc_co_u32_e64 v14, s[0:1], 0, v9, s[0:1]
	v_subb_co_u32_e32 v8, vcc, v6, v8, vcc
	v_cmp_ne_u32_e64 s[0:1], 0, v10
	v_cmp_le_u32_e32 vcc, s21, v8
	v_cndmask_b32_e64 v10, v14, v12, s[0:1]
	v_cndmask_b32_e64 v12, 0, -1, vcc
	v_cmp_le_u32_e32 vcc, s20, v7
	v_cndmask_b32_e64 v7, 0, -1, vcc
	v_cmp_eq_u32_e32 vcc, s21, v8
	v_cndmask_b32_e32 v7, v12, v7, vcc
	v_cmp_ne_u32_e32 vcc, 0, v7
	v_cndmask_b32_e64 v7, v13, v11, s[0:1]
	v_cndmask_b32_e32 v8, v9, v10, vcc
	v_cndmask_b32_e32 v7, v4, v7, vcc
.LBB0_4:                                ;   in Loop: Header=BB0_2 Depth=1
	s_andn2_saveexec_b64 s[0:1], s[22:23]
	s_cbranch_execz .LBB0_6
; %bb.5:                                ;   in Loop: Header=BB0_2 Depth=1
	v_cvt_f32_u32_e32 v4, s20
	s_sub_i32 s22, 0, s20
	v_rcp_iflag_f32_e32 v4, v4
	v_mul_f32_e32 v4, 0x4f7ffffe, v4
	v_cvt_u32_f32_e32 v4, v4
	v_mul_lo_u32 v7, s22, v4
	v_mul_hi_u32 v7, v4, v7
	v_add_u32_e32 v4, v4, v7
	v_mul_hi_u32 v4, v5, v4
	v_mul_lo_u32 v7, v4, s20
	v_add_u32_e32 v8, 1, v4
	v_sub_u32_e32 v7, v5, v7
	v_subrev_u32_e32 v9, s20, v7
	v_cmp_le_u32_e32 vcc, s20, v7
	v_cndmask_b32_e32 v7, v7, v9, vcc
	v_cndmask_b32_e32 v4, v4, v8, vcc
	v_add_u32_e32 v8, 1, v4
	v_cmp_le_u32_e32 vcc, s20, v7
	v_cndmask_b32_e32 v7, v4, v8, vcc
	v_mov_b32_e32 v8, v3
.LBB0_6:                                ;   in Loop: Header=BB0_2 Depth=1
	s_or_b64 exec, exec, s[0:1]
	v_mul_lo_u32 v4, v8, s20
	v_mul_lo_u32 v11, v7, s21
	v_mad_u64_u32 v[9:10], s[0:1], v7, s20, 0
	s_load_dwordx2 s[0:1], s[6:7], 0x0
	s_add_u32 s18, s18, 1
	v_add3_u32 v4, v10, v11, v4
	v_sub_co_u32_e32 v5, vcc, v5, v9
	v_subb_co_u32_e32 v4, vcc, v6, v4, vcc
	s_waitcnt lgkmcnt(0)
	v_mul_lo_u32 v4, s0, v4
	v_mul_lo_u32 v6, s1, v5
	v_mad_u64_u32 v[1:2], s[0:1], s0, v5, v[1:2]
	s_addc_u32 s19, s19, 0
	s_add_u32 s6, s6, 8
	v_add3_u32 v2, v6, v2, v4
	v_mov_b32_e32 v4, s10
	v_mov_b32_e32 v5, s11
	s_addc_u32 s7, s7, 0
	v_cmp_ge_u64_e32 vcc, s[18:19], v[4:5]
	s_add_u32 s16, s16, 8
	s_addc_u32 s17, s17, 0
	s_cbranch_vccnz .LBB0_9
; %bb.7:                                ;   in Loop: Header=BB0_2 Depth=1
	v_mov_b32_e32 v5, v7
	v_mov_b32_e32 v6, v8
	s_branch .LBB0_2
.LBB0_8:
	v_mov_b32_e32 v8, v6
	v_mov_b32_e32 v7, v5
.LBB0_9:
	s_lshl_b64 s[0:1], s[10:11], 3
	s_add_u32 s0, s14, s0
	s_addc_u32 s1, s15, s1
	s_load_dwordx2 s[6:7], s[0:1], 0x0
	s_load_dwordx2 s[10:11], s[4:5], 0x20
	v_and_b32_e32 v87, 31, v0
	v_or_b32_e32 v89, 32, v87
	v_or_b32_e32 v88, 64, v87
	s_waitcnt lgkmcnt(0)
	v_mul_lo_u32 v3, s6, v8
	v_mul_lo_u32 v4, s7, v7
	v_mad_u64_u32 v[1:2], s[0:1], s6, v7, v[1:2]
	v_cmp_gt_u64_e32 vcc, s[10:11], v[7:8]
	v_cmp_le_u64_e64 s[0:1], s[10:11], v[7:8]
	v_add3_u32 v2, v4, v2, v3
                                        ; implicit-def: $vgpr90
                                        ; implicit-def: $vgpr91
                                        ; implicit-def: $vgpr92
                                        ; implicit-def: $vgpr93
	s_and_saveexec_b64 s[4:5], s[0:1]
	s_xor_b64 s[0:1], exec, s[4:5]
; %bb.10:
	v_or_b32_e32 v89, 32, v87
	v_or_b32_e32 v88, 64, v87
	;; [unrolled: 1-line block ×6, first 2 shown]
; %bb.11:
	s_or_saveexec_b64 s[4:5], s[0:1]
	v_lshlrev_b64 v[65:66], 4, v[1:2]
                                        ; implicit-def: $vgpr31_vgpr32
                                        ; implicit-def: $vgpr43_vgpr44
                                        ; implicit-def: $vgpr47_vgpr48
                                        ; implicit-def: $vgpr51_vgpr52
                                        ; implicit-def: $vgpr39_vgpr40
                                        ; implicit-def: $vgpr27_vgpr28
                                        ; implicit-def: $vgpr23_vgpr24
                                        ; implicit-def: $vgpr15_vgpr16
                                        ; implicit-def: $vgpr11_vgpr12
                                        ; implicit-def: $vgpr7_vgpr8
                                        ; implicit-def: $vgpr19_vgpr20
                                        ; implicit-def: $vgpr35_vgpr36
                                        ; implicit-def: $vgpr3_vgpr4
	s_xor_b64 exec, exec, s[4:5]
	s_cbranch_execz .LBB0_13
; %bb.12:
	v_mad_u64_u32 v[1:2], s[0:1], s2, v87, 0
	v_mov_b32_e32 v5, s13
	v_or_b32_e32 v90, 0x60, v87
	v_mad_u64_u32 v[2:3], s[0:1], s3, v87, v[2:3]
	v_mad_u64_u32 v[3:4], s[0:1], s2, v89, 0
	v_add_co_u32_e64 v9, s[0:1], s12, v65
	v_addc_co_u32_e64 v10, s[0:1], v5, v66, s[0:1]
	v_mad_u64_u32 v[4:5], s[0:1], s3, v89, v[4:5]
	v_mad_u64_u32 v[5:6], s[0:1], s2, v88, 0
	v_lshlrev_b64 v[1:2], 4, v[1:2]
	v_or_b32_e32 v91, 0x80, v87
	v_add_co_u32_e64 v53, s[0:1], v9, v1
	v_addc_co_u32_e64 v54, s[0:1], v10, v2, s[0:1]
	v_lshlrev_b64 v[1:2], 4, v[3:4]
	v_mov_b32_e32 v3, v6
	v_mad_u64_u32 v[3:4], s[0:1], s3, v88, v[3:4]
	v_mad_u64_u32 v[7:8], s[0:1], s2, v90, 0
	v_add_co_u32_e64 v55, s[0:1], v9, v1
	v_mov_b32_e32 v6, v3
	v_mov_b32_e32 v3, v8
	v_addc_co_u32_e64 v56, s[0:1], v10, v2, s[0:1]
	v_mad_u64_u32 v[3:4], s[0:1], s3, v90, v[3:4]
	v_lshlrev_b64 v[1:2], 4, v[5:6]
	v_mad_u64_u32 v[4:5], s[0:1], s2, v91, 0
	v_add_co_u32_e64 v57, s[0:1], v9, v1
	v_mov_b32_e32 v8, v3
	v_mov_b32_e32 v3, v5
	v_addc_co_u32_e64 v58, s[0:1], v10, v2, s[0:1]
	v_mad_u64_u32 v[5:6], s[0:1], s3, v91, v[3:4]
	v_or_b32_e32 v92, 0xa0, v87
	v_lshlrev_b64 v[1:2], 4, v[7:8]
	v_mad_u64_u32 v[6:7], s[0:1], s2, v92, 0
	v_add_co_u32_e64 v59, s[0:1], v9, v1
	v_mov_b32_e32 v3, v7
	v_addc_co_u32_e64 v60, s[0:1], v10, v2, s[0:1]
	v_lshlrev_b64 v[1:2], 4, v[4:5]
	v_mad_u64_u32 v[3:4], s[0:1], s3, v92, v[3:4]
	v_or_b32_e32 v93, 0xc0, v87
	v_mad_u64_u32 v[4:5], s[0:1], s2, v93, 0
	v_add_co_u32_e64 v61, s[0:1], v9, v1
	v_mov_b32_e32 v7, v3
	v_mov_b32_e32 v3, v5
	v_addc_co_u32_e64 v62, s[0:1], v10, v2, s[0:1]
	v_lshlrev_b64 v[1:2], 4, v[6:7]
	v_mad_u64_u32 v[5:6], s[0:1], s3, v93, v[3:4]
	v_or_b32_e32 v8, 0xe0, v87
	v_mad_u64_u32 v[6:7], s[0:1], s2, v8, 0
	v_add_co_u32_e64 v63, s[0:1], v9, v1
	v_mov_b32_e32 v3, v7
	v_addc_co_u32_e64 v64, s[0:1], v10, v2, s[0:1]
	v_lshlrev_b64 v[1:2], 4, v[4:5]
	v_mad_u64_u32 v[3:4], s[0:1], s3, v8, v[3:4]
	v_or_b32_e32 v8, 0x100, v87
	v_mad_u64_u32 v[4:5], s[0:1], s2, v8, 0
	v_add_co_u32_e64 v67, s[0:1], v9, v1
	v_mov_b32_e32 v7, v3
	v_mov_b32_e32 v3, v5
	v_addc_co_u32_e64 v68, s[0:1], v10, v2, s[0:1]
	v_lshlrev_b64 v[1:2], 4, v[6:7]
	v_mad_u64_u32 v[5:6], s[0:1], s3, v8, v[3:4]
	v_or_b32_e32 v8, 0x120, v87
	;; [unrolled: 15-line block ×3, first 2 shown]
	v_mad_u64_u32 v[6:7], s[0:1], s2, v8, 0
	v_add_co_u32_e64 v73, s[0:1], v9, v1
	v_mov_b32_e32 v3, v7
	v_addc_co_u32_e64 v74, s[0:1], v10, v2, s[0:1]
	v_lshlrev_b64 v[1:2], 4, v[4:5]
	v_mad_u64_u32 v[3:4], s[0:1], s3, v8, v[3:4]
	v_or_b32_e32 v8, 0x180, v87
	v_mad_u64_u32 v[4:5], s[0:1], s2, v8, 0
	v_add_co_u32_e64 v75, s[0:1], v9, v1
	v_mov_b32_e32 v7, v3
	v_mov_b32_e32 v3, v5
	v_addc_co_u32_e64 v76, s[0:1], v10, v2, s[0:1]
	v_lshlrev_b64 v[1:2], 4, v[6:7]
	v_mad_u64_u32 v[5:6], s[0:1], s3, v8, v[3:4]
	v_add_co_u32_e64 v77, s[0:1], v9, v1
	v_addc_co_u32_e64 v78, s[0:1], v10, v2, s[0:1]
	v_lshlrev_b64 v[1:2], 4, v[4:5]
	v_add_co_u32_e64 v79, s[0:1], v9, v1
	v_addc_co_u32_e64 v80, s[0:1], v10, v2, s[0:1]
	global_load_dwordx4 v[1:4], v[53:54], off
	global_load_dwordx4 v[29:32], v[55:56], off
	;; [unrolled: 1-line block ×13, first 2 shown]
.LBB0_13:
	s_or_b64 exec, exec, s[4:5]
	s_waitcnt vmcnt(11)
	v_add_f64 v[63:64], v[31:32], v[3:4]
	v_add_f64 v[61:62], v[29:30], v[1:2]
	s_waitcnt vmcnt(3)
	v_add_f64 v[69:70], v[51:52], v[19:20]
	v_add_f64 v[81:82], v[51:52], -v[19:20]
	v_add_f64 v[71:72], v[39:40], -v[23:24]
	v_add_f64 v[73:74], v[49:50], v[17:18]
	v_add_f64 v[53:54], v[27:28], v[35:36]
	v_add_f64 v[59:60], v[35:36], -v[27:28]
	v_add_f64 v[77:78], v[43:44], v[63:64]
	v_add_f64 v[75:76], v[41:42], v[61:62]
	v_add_f64 v[61:62], v[39:40], v[23:24]
	v_add_f64 v[63:64], v[37:38], v[21:22]
	v_add_f64 v[67:68], v[37:38], -v[21:22]
	v_add_f64 v[55:56], v[25:26], v[33:34]
	v_add_f64 v[57:58], v[33:34], -v[25:26]
	s_waitcnt vmcnt(2)
	v_add_f64 v[85:86], v[47:48], -v[15:16]
	v_add_f64 v[96:97], v[47:48], v[77:78]
	v_add_f64 v[94:95], v[45:46], v[75:76]
	v_add_f64 v[77:78], v[49:50], -v[17:18]
	v_add_f64 v[75:76], v[47:48], v[15:16]
	v_add_f64 v[79:80], v[45:46], v[13:14]
	v_add_f64 v[83:84], v[45:46], -v[13:14]
	s_waitcnt vmcnt(1)
	v_add_f64 v[45:46], v[43:44], v[11:12]
	v_add_f64 v[43:44], v[43:44], -v[11:12]
	v_add_f64 v[51:52], v[51:52], v[96:97]
	v_add_f64 v[49:50], v[49:50], v[94:95]
	s_waitcnt vmcnt(0)
	v_add_f64 v[94:95], v[29:30], v[5:6]
	v_add_f64 v[96:97], v[31:32], v[7:8]
	v_add_f64 v[29:30], v[29:30], -v[5:6]
	v_add_f64 v[31:32], v[31:32], -v[7:8]
	s_mov_b32 s24, 0x42a4c3d2
	s_mov_b32 s28, 0x66966769
	v_add_f64 v[39:40], v[39:40], v[51:52]
	v_add_f64 v[37:38], v[37:38], v[49:50]
	s_mov_b32 s14, 0x2ef20147
	s_mov_b32 s20, 0x24c2f84
	;; [unrolled: 1-line block ×6, first 2 shown]
	v_add_f64 v[35:36], v[35:36], v[39:40]
	v_add_f64 v[33:34], v[33:34], v[37:38]
	s_mov_b32 s29, 0xbfefc445
	s_mov_b32 s15, 0xbfedeba7
	;; [unrolled: 1-line block ×4, first 2 shown]
	v_add_f64 v[47:48], v[41:42], v[9:10]
	v_add_f64 v[41:42], v[41:42], -v[9:10]
	v_add_f64 v[27:28], v[27:28], v[35:36]
	v_add_f64 v[25:26], v[25:26], v[33:34]
	v_mul_f64 v[33:34], v[31:32], s[20:21]
	s_mov_b32 s6, 0xe00740e9
	s_mov_b32 s10, 0x1ea71119
	;; [unrolled: 1-line block ×5, first 2 shown]
	v_add_f64 v[23:24], v[23:24], v[27:28]
	v_add_f64 v[21:22], v[21:22], v[25:26]
	v_mul_f64 v[25:26], v[31:32], s[28:29]
	v_mul_f64 v[27:28], v[31:32], s[14:15]
	s_mov_b32 s22, 0x93053d00
	s_mov_b32 s7, 0x3fec55a7
	;; [unrolled: 1-line block ×4, first 2 shown]
	v_add_f64 v[19:20], v[19:20], v[23:24]
	v_add_f64 v[17:18], v[17:18], v[21:22]
	v_mul_f64 v[21:22], v[31:32], s[18:19]
	v_mul_f64 v[23:24], v[31:32], s[24:25]
	s_mov_b32 s5, 0xbfd6b1d8
	s_mov_b32 s17, 0xbfe7f3cc
	;; [unrolled: 1-line block ×3, first 2 shown]
	v_fma_f64 v[37:38], v[94:95], s[16:17], v[33:34]
	v_add_f64 v[15:16], v[15:16], v[19:20]
	v_add_f64 v[13:14], v[13:14], v[17:18]
	v_mul_f64 v[17:18], v[31:32], s[30:31]
	v_mul_f64 v[19:20], v[29:30], s[18:19]
	v_fma_f64 v[31:32], v[94:95], s[6:7], v[21:22]
	v_fma_f64 v[21:22], v[94:95], s[6:7], -v[21:22]
	v_fma_f64 v[35:36], v[94:95], s[10:11], v[23:24]
	v_fma_f64 v[23:24], v[94:95], s[10:11], -v[23:24]
	v_add_f64 v[11:12], v[11:12], v[15:16]
	v_add_f64 v[9:10], v[9:10], v[13:14]
	v_fma_f64 v[13:14], v[94:95], s[0:1], v[25:26]
	v_fma_f64 v[15:16], v[94:95], s[0:1], -v[25:26]
	v_fma_f64 v[25:26], v[94:95], s[4:5], v[27:28]
	v_fma_f64 v[27:28], v[94:95], s[4:5], -v[27:28]
	v_fma_f64 v[33:34], v[94:95], s[16:17], -v[33:34]
	v_mul_f64 v[39:40], v[29:30], s[28:29]
	v_add_f64 v[7:8], v[7:8], v[11:12]
	v_mul_f64 v[11:12], v[29:30], s[24:25]
	v_add_f64 v[5:6], v[5:6], v[9:10]
	v_fma_f64 v[9:10], v[94:95], s[22:23], v[17:18]
	v_fma_f64 v[17:18], v[94:95], s[22:23], -v[17:18]
	v_mul_f64 v[51:52], v[29:30], s[14:15]
	v_mul_f64 v[94:95], v[29:30], s[20:21]
	;; [unrolled: 1-line block ×3, first 2 shown]
	v_fma_f64 v[49:50], v[96:97], s[6:7], -v[19:20]
	v_fma_f64 v[98:99], v[96:97], s[10:11], -v[11:12]
	v_fma_f64 v[11:12], v[96:97], s[10:11], v[11:12]
	v_fma_f64 v[19:20], v[96:97], s[6:7], v[19:20]
	v_fma_f64 v[100:101], v[96:97], s[0:1], -v[39:40]
	v_fma_f64 v[39:40], v[96:97], s[0:1], v[39:40]
	v_fma_f64 v[102:103], v[96:97], s[4:5], -v[51:52]
	;; [unrolled: 2-line block ×4, first 2 shown]
	v_fma_f64 v[29:30], v[96:97], s[22:23], v[29:30]
	v_add_f64 v[96:97], v[98:99], v[3:4]
	v_add_f64 v[98:99], v[11:12], v[3:4]
	v_mul_f64 v[11:12], v[43:44], s[24:25]
	v_mul_f64 v[108:109], v[41:42], s[24:25]
	v_add_f64 v[31:32], v[31:32], v[1:2]
	v_add_f64 v[49:50], v[49:50], v[3:4]
	;; [unrolled: 1-line block ×4, first 2 shown]
	v_mul_f64 v[114:115], v[85:86], s[28:29]
	v_mul_f64 v[116:117], v[83:84], s[28:29]
	v_fma_f64 v[13:14], v[47:48], s[10:11], v[11:12]
	v_fma_f64 v[15:16], v[45:46], s[10:11], -v[108:109]
	v_add_f64 v[118:119], v[27:28], v[1:2]
	v_mul_f64 v[120:121], v[77:78], s[14:15]
	v_add_f64 v[122:123], v[33:34], v[1:2]
	v_add_f64 v[124:125], v[9:10], v[1:2]
	v_fma_f64 v[27:28], v[79:80], s[0:1], v[114:115]
	v_mul_f64 v[33:34], v[67:68], s[20:21]
	v_add_f64 v[13:14], v[13:14], v[31:32]
	v_add_f64 v[15:16], v[15:16], v[49:50]
	v_fma_f64 v[31:32], v[75:76], s[0:1], -v[116:117]
	v_mul_f64 v[49:50], v[81:82], s[14:15]
	v_add_f64 v[21:22], v[21:22], v[1:2]
	v_add_f64 v[19:20], v[19:20], v[3:4]
	;; [unrolled: 1-line block ×5, first 2 shown]
	v_fma_f64 v[27:28], v[69:70], s[4:5], -v[120:121]
	v_add_f64 v[13:14], v[31:32], v[15:16]
	v_fma_f64 v[15:16], v[73:74], s[4:5], v[49:50]
	v_mul_f64 v[31:32], v[71:72], s[20:21]
	v_add_f64 v[100:101], v[100:101], v[3:4]
	v_add_f64 v[39:40], v[39:40], v[3:4]
	;; [unrolled: 1-line block ×11, first 2 shown]
	v_fma_f64 v[1:2], v[47:48], s[10:11], -v[11:12]
	v_fma_f64 v[3:4], v[45:46], s[10:11], v[108:109]
	v_add_f64 v[9:10], v[15:16], v[9:10]
	v_add_f64 v[11:12], v[27:28], v[13:14]
	v_fma_f64 v[13:14], v[63:64], s[16:17], v[31:32]
	v_fma_f64 v[15:16], v[61:62], s[16:17], -v[33:34]
	v_mul_f64 v[17:18], v[59:60], s[30:31]
	v_mul_f64 v[27:28], v[57:58], s[30:31]
	v_add_f64 v[1:2], v[1:2], v[21:22]
	v_add_f64 v[3:4], v[3:4], v[19:20]
	v_fma_f64 v[19:20], v[79:80], s[0:1], -v[114:115]
	v_fma_f64 v[21:22], v[75:76], s[0:1], v[116:117]
	v_add_f64 v[9:10], v[13:14], v[9:10]
	v_add_f64 v[11:12], v[15:16], v[11:12]
	v_fma_f64 v[13:14], v[55:56], s[22:23], v[17:18]
	v_fma_f64 v[15:16], v[53:54], s[22:23], -v[27:28]
	v_mul_f64 v[29:30], v[43:44], s[14:15]
	v_mul_f64 v[108:109], v[41:42], s[14:15]
	v_add_f64 v[1:2], v[19:20], v[1:2]
	v_add_f64 v[3:4], v[21:22], v[3:4]
	v_fma_f64 v[19:20], v[73:74], s[4:5], -v[49:50]
	v_fma_f64 v[21:22], v[69:70], s[4:5], v[120:121]
	v_add_f64 v[9:10], v[13:14], v[9:10]
	v_add_f64 v[11:12], v[15:16], v[11:12]
	v_fma_f64 v[13:14], v[47:48], s[4:5], v[29:30]
	v_fma_f64 v[15:16], v[45:46], s[4:5], -v[108:109]
	v_mul_f64 v[49:50], v[85:86], s[30:31]
	v_mul_f64 v[114:115], v[83:84], s[30:31]
	s_mov_b32 s35, 0x3fe5384d
	s_mov_b32 s34, s20
	v_add_f64 v[1:2], v[19:20], v[1:2]
	v_add_f64 v[3:4], v[21:22], v[3:4]
	v_fma_f64 v[19:20], v[63:64], s[16:17], -v[31:32]
	v_fma_f64 v[21:22], v[61:62], s[16:17], v[33:34]
	v_add_f64 v[13:14], v[13:14], v[35:36]
	v_add_f64 v[15:16], v[15:16], v[96:97]
	v_fma_f64 v[31:32], v[79:80], s[22:23], v[49:50]
	v_fma_f64 v[33:34], v[75:76], s[22:23], -v[114:115]
	v_mul_f64 v[35:36], v[81:82], s[34:35]
	v_mul_f64 v[96:97], v[77:78], s[34:35]
	s_mov_b32 s27, 0x3fefc445
	s_mov_b32 s26, s28
	v_add_f64 v[1:2], v[19:20], v[1:2]
	v_add_f64 v[3:4], v[21:22], v[3:4]
	;; [unrolled: 1-line block ×4, first 2 shown]
	v_fma_f64 v[19:20], v[73:74], s[16:17], v[35:36]
	v_fma_f64 v[21:22], v[69:70], s[16:17], -v[96:97]
	v_mul_f64 v[31:32], v[71:72], s[26:27]
	v_mul_f64 v[33:34], v[67:68], s[26:27]
	s_mov_b32 s19, 0x3fddbe06
	v_fma_f64 v[27:28], v[53:54], s[22:23], v[27:28]
	v_fma_f64 v[17:18], v[55:56], s[22:23], -v[17:18]
	v_fma_f64 v[49:50], v[79:80], s[22:23], -v[49:50]
	v_add_f64 v[13:14], v[19:20], v[13:14]
	v_add_f64 v[15:16], v[21:22], v[15:16]
	v_fma_f64 v[19:20], v[63:64], s[0:1], v[31:32]
	v_fma_f64 v[21:22], v[61:62], s[0:1], -v[33:34]
	v_fma_f64 v[114:115], v[75:76], s[22:23], v[114:115]
	v_add_f64 v[3:4], v[27:28], v[3:4]
	v_mul_f64 v[27:28], v[43:44], s[30:31]
	v_mul_f64 v[116:117], v[41:42], s[30:31]
	s_mov_b32 s37, 0x3fedeba7
	s_mov_b32 s36, s14
	v_add_f64 v[13:14], v[19:20], v[13:14]
	v_add_f64 v[15:16], v[21:22], v[15:16]
	v_fma_f64 v[19:20], v[47:48], s[4:5], -v[29:30]
	v_mul_f64 v[21:22], v[59:60], s[18:19]
	v_fma_f64 v[29:30], v[45:46], s[4:5], v[108:109]
	v_mul_f64 v[108:109], v[57:58], s[18:19]
	v_add_f64 v[1:2], v[17:18], v[1:2]
	s_mov_b32 s31, 0x3fcea1e5
	v_mul_f64 v[120:121], v[67:68], s[30:31]
	v_and_b32_e32 v0, 32, v0
	v_add_f64 v[19:20], v[19:20], v[23:24]
	v_fma_f64 v[23:24], v[55:56], s[6:7], v[21:22]
	v_add_f64 v[29:30], v[29:30], v[98:99]
	v_fma_f64 v[98:99], v[53:54], s[6:7], -v[108:109]
	v_fma_f64 v[21:22], v[55:56], s[6:7], -v[21:22]
	v_add_f64 v[17:18], v[49:50], v[19:20]
	v_add_f64 v[13:14], v[23:24], v[13:14]
	;; [unrolled: 1-line block ×4, first 2 shown]
	v_fma_f64 v[23:24], v[73:74], s[16:17], -v[35:36]
	v_fma_f64 v[29:30], v[69:70], s[16:17], v[96:97]
	v_fma_f64 v[35:36], v[47:48], s[22:23], v[27:28]
	v_fma_f64 v[49:50], v[45:46], s[22:23], -v[116:117]
	v_mul_f64 v[96:97], v[85:86], s[36:37]
	v_mul_f64 v[98:99], v[83:84], s[36:37]
	;; [unrolled: 1-line block ×3, first 2 shown]
	v_add_f64 v[17:18], v[23:24], v[17:18]
	v_add_f64 v[19:20], v[29:30], v[19:20]
	v_fma_f64 v[23:24], v[63:64], s[0:1], -v[31:32]
	v_fma_f64 v[29:30], v[61:62], s[0:1], v[33:34]
	v_add_f64 v[31:32], v[35:36], v[110:111]
	v_add_f64 v[33:34], v[49:50], v[100:101]
	v_fma_f64 v[35:36], v[79:80], s[4:5], v[96:97]
	v_fma_f64 v[49:50], v[75:76], s[4:5], -v[98:99]
	v_mul_f64 v[100:101], v[81:82], s[18:19]
	v_mul_f64 v[110:111], v[77:78], s[18:19]
	v_add_f64 v[17:18], v[23:24], v[17:18]
	v_add_f64 v[19:20], v[29:30], v[19:20]
	v_fma_f64 v[23:24], v[53:54], s[6:7], v[108:109]
	v_mul_f64 v[108:109], v[67:68], s[24:25]
	v_add_f64 v[29:30], v[35:36], v[31:32]
	v_add_f64 v[31:32], v[49:50], v[33:34]
	v_fma_f64 v[33:34], v[73:74], s[6:7], v[100:101]
	v_fma_f64 v[35:36], v[69:70], s[6:7], -v[110:111]
	v_mul_f64 v[49:50], v[71:72], s[24:25]
	v_add_f64 v[17:18], v[21:22], v[17:18]
	v_add_f64 v[19:20], v[23:24], v[19:20]
	v_fma_f64 v[21:22], v[47:48], s[22:23], -v[27:28]
	v_fma_f64 v[23:24], v[45:46], s[22:23], v[116:117]
	v_fma_f64 v[100:101], v[73:74], s[6:7], -v[100:101]
	v_add_f64 v[27:28], v[33:34], v[29:30]
	v_add_f64 v[29:30], v[35:36], v[31:32]
	v_fma_f64 v[31:32], v[63:64], s[10:11], v[49:50]
	v_fma_f64 v[33:34], v[61:62], s[10:11], -v[108:109]
	v_mul_f64 v[35:36], v[59:60], s[20:21]
	v_add_f64 v[21:22], v[21:22], v[112:113]
	v_add_f64 v[23:24], v[23:24], v[39:40]
	v_fma_f64 v[39:40], v[79:80], s[4:5], -v[96:97]
	v_fma_f64 v[96:97], v[75:76], s[4:5], v[98:99]
	v_mul_f64 v[98:99], v[43:44], s[34:35]
	v_add_f64 v[27:28], v[31:32], v[27:28]
	v_add_f64 v[29:30], v[33:34], v[29:30]
	v_fma_f64 v[31:32], v[55:56], s[16:17], v[35:36]
	v_fma_f64 v[33:34], v[53:54], s[16:17], -v[114:115]
	v_mul_f64 v[112:113], v[41:42], s[34:35]
	v_add_f64 v[39:40], v[39:40], v[21:22]
	v_add_f64 v[96:97], v[96:97], v[23:24]
	v_fma_f64 v[110:111], v[69:70], s[6:7], v[110:111]
	v_fma_f64 v[49:50], v[63:64], s[10:11], -v[49:50]
	v_fma_f64 v[35:36], v[55:56], s[16:17], -v[35:36]
	v_add_f64 v[21:22], v[31:32], v[27:28]
	v_add_f64 v[23:24], v[33:34], v[29:30]
	v_fma_f64 v[27:28], v[47:48], s[16:17], v[98:99]
	v_fma_f64 v[29:30], v[45:46], s[16:17], -v[112:113]
	v_mul_f64 v[31:32], v[85:86], s[18:19]
	v_mul_f64 v[33:34], v[83:84], s[18:19]
	v_add_f64 v[39:40], v[100:101], v[39:40]
	v_add_f64 v[96:97], v[110:111], v[96:97]
	v_fma_f64 v[100:101], v[61:62], s[10:11], v[108:109]
	v_mul_f64 v[108:109], v[81:82], s[28:29]
	v_add_f64 v[25:26], v[27:28], v[25:26]
	v_add_f64 v[27:28], v[29:30], v[102:103]
	v_fma_f64 v[29:30], v[79:80], s[6:7], v[31:32]
	v_fma_f64 v[102:103], v[75:76], s[6:7], -v[33:34]
	v_mul_f64 v[110:111], v[77:78], s[28:29]
	v_add_f64 v[39:40], v[49:50], v[39:40]
	v_add_f64 v[49:50], v[100:101], v[96:97]
	v_fma_f64 v[96:97], v[53:54], s[16:17], v[114:115]
	v_mul_f64 v[116:117], v[71:72], s[30:31]
	s_mov_b32 s29, 0x3fea55e2
	v_add_f64 v[29:30], v[29:30], v[25:26]
	v_add_f64 v[100:101], v[102:103], v[27:28]
	v_fma_f64 v[102:103], v[73:74], s[0:1], v[108:109]
	v_fma_f64 v[114:115], v[69:70], s[0:1], -v[110:111]
	s_mov_b32 s28, s24
	v_add_f64 v[25:26], v[35:36], v[39:40]
	v_add_f64 v[27:28], v[96:97], v[49:50]
	v_fma_f64 v[39:40], v[47:48], s[16:17], -v[98:99]
	v_fma_f64 v[49:50], v[45:46], s[16:17], v[112:113]
	v_fma_f64 v[96:97], v[63:64], s[22:23], v[116:117]
	v_add_f64 v[29:30], v[102:103], v[29:30]
	v_add_f64 v[35:36], v[114:115], v[100:101]
	v_fma_f64 v[98:99], v[61:62], s[22:23], -v[120:121]
	v_mul_f64 v[100:101], v[59:60], s[28:29]
	v_mul_f64 v[102:103], v[57:58], s[28:29]
	v_add_f64 v[39:40], v[39:40], v[118:119]
	v_add_f64 v[49:50], v[49:50], v[51:52]
	v_fma_f64 v[31:32], v[79:80], s[6:7], -v[31:32]
	v_fma_f64 v[33:34], v[75:76], s[6:7], v[33:34]
	v_add_f64 v[29:30], v[96:97], v[29:30]
	v_add_f64 v[35:36], v[98:99], v[35:36]
	v_fma_f64 v[51:52], v[55:56], s[10:11], v[100:101]
	v_fma_f64 v[96:97], v[53:54], s[10:11], -v[102:103]
	v_mul_f64 v[98:99], v[43:44], s[26:27]
	v_mul_f64 v[112:113], v[41:42], s[26:27]
	v_add_f64 v[39:40], v[31:32], v[39:40]
	v_add_f64 v[33:34], v[33:34], v[49:50]
	v_fma_f64 v[49:50], v[73:74], s[0:1], -v[108:109]
	v_fma_f64 v[108:109], v[69:70], s[0:1], v[110:111]
	v_add_f64 v[29:30], v[51:52], v[29:30]
	v_add_f64 v[31:32], v[96:97], v[35:36]
	v_fma_f64 v[35:36], v[47:48], s[0:1], v[98:99]
	v_fma_f64 v[51:52], v[45:46], s[0:1], -v[112:113]
	v_mul_f64 v[96:97], v[85:86], s[24:25]
	v_mul_f64 v[110:111], v[83:84], s[24:25]
	v_add_f64 v[39:40], v[49:50], v[39:40]
	v_add_f64 v[33:34], v[108:109], v[33:34]
	v_fma_f64 v[49:50], v[63:64], s[22:23], -v[116:117]
	v_fma_f64 v[108:109], v[61:62], s[22:23], v[120:121]
	v_add_f64 v[35:36], v[35:36], v[37:38]
	v_add_f64 v[37:38], v[51:52], v[104:105]
	v_fma_f64 v[51:52], v[79:80], s[10:11], v[96:97]
	v_fma_f64 v[104:105], v[75:76], s[10:11], -v[110:111]
	v_mul_f64 v[114:115], v[81:82], s[30:31]
	v_mul_f64 v[116:117], v[77:78], s[30:31]
	v_add_f64 v[39:40], v[49:50], v[39:40]
	v_add_f64 v[49:50], v[108:109], v[33:34]
	v_fma_f64 v[100:101], v[55:56], s[10:11], -v[100:101]
	v_fma_f64 v[102:103], v[53:54], s[10:11], v[102:103]
	v_add_f64 v[33:34], v[51:52], v[35:36]
	v_add_f64 v[35:36], v[104:105], v[37:38]
	v_fma_f64 v[37:38], v[73:74], s[22:23], v[114:115]
	v_fma_f64 v[51:52], v[69:70], s[22:23], -v[116:117]
	v_fma_f64 v[98:99], v[47:48], s[0:1], -v[98:99]
	v_fma_f64 v[112:113], v[45:46], s[0:1], v[112:113]
	v_mul_f64 v[43:44], v[43:44], s[18:19]
	v_mul_f64 v[41:42], v[41:42], s[18:19]
	;; [unrolled: 1-line block ×4, first 2 shown]
	v_add_f64 v[37:38], v[37:38], v[33:34]
	v_add_f64 v[51:52], v[51:52], v[35:36]
	;; [unrolled: 1-line block ×6, first 2 shown]
	v_fma_f64 v[94:95], v[79:80], s[10:11], -v[96:97]
	v_fma_f64 v[96:97], v[75:76], s[10:11], v[110:111]
	v_fma_f64 v[112:113], v[47:48], s[6:7], v[43:44]
	v_mul_f64 v[83:84], v[83:84], s[20:21]
	v_fma_f64 v[43:44], v[47:48], s[6:7], -v[43:44]
	v_fma_f64 v[118:119], v[63:64], s[6:7], v[104:105]
	v_fma_f64 v[47:48], v[63:64], s[6:7], -v[104:105]
	v_fma_f64 v[104:105], v[79:80], s[16:17], v[85:86]
	v_add_f64 v[39:40], v[94:95], v[39:40]
	v_add_f64 v[49:50], v[96:97], v[49:50]
	v_fma_f64 v[94:95], v[73:74], s[22:23], -v[114:115]
	v_fma_f64 v[96:97], v[69:70], s[22:23], v[116:117]
	v_fma_f64 v[114:115], v[45:46], s[6:7], -v[41:42]
	v_fma_f64 v[41:42], v[45:46], s[6:7], v[41:42]
	v_mul_f64 v[45:46], v[81:82], s[28:29]
	v_add_f64 v[43:44], v[43:44], v[126:127]
	v_mul_f64 v[77:78], v[77:78], s[28:29]
	v_fma_f64 v[79:80], v[79:80], s[16:17], -v[85:86]
	v_add_f64 v[39:40], v[94:95], v[39:40]
	v_add_f64 v[49:50], v[96:97], v[49:50]
	;; [unrolled: 1-line block ×3, first 2 shown]
	v_fma_f64 v[106:107], v[75:76], s[16:17], -v[83:84]
	v_add_f64 v[41:42], v[41:42], v[128:129]
	v_fma_f64 v[75:76], v[75:76], s[16:17], v[83:84]
	v_add_f64 v[94:95], v[112:113], v[124:125]
	v_mul_f64 v[108:109], v[67:68], s[18:19]
	v_fma_f64 v[83:84], v[73:74], s[10:11], v[45:46]
	v_fma_f64 v[85:86], v[69:70], s[10:11], -v[77:78]
	v_add_f64 v[43:44], v[79:80], v[43:44]
	v_add_f64 v[81:82], v[106:107], v[96:97]
	v_fma_f64 v[45:46], v[73:74], s[10:11], -v[45:46]
	v_mul_f64 v[67:68], v[67:68], s[14:15]
	v_add_f64 v[41:42], v[75:76], v[41:42]
	v_fma_f64 v[69:70], v[69:70], s[10:11], v[77:78]
	v_add_f64 v[47:48], v[47:48], v[39:40]
	v_add_f64 v[39:40], v[104:105], v[94:95]
	v_mul_f64 v[71:72], v[71:72], s[14:15]
	v_fma_f64 v[120:121], v[61:62], s[6:7], -v[108:109]
	v_mul_f64 v[100:101], v[57:58], s[14:15]
	v_fma_f64 v[73:74], v[61:62], s[6:7], v[108:109]
	v_add_f64 v[75:76], v[85:86], v[81:82]
	v_add_f64 v[43:44], v[45:46], v[43:44]
	v_fma_f64 v[45:46], v[61:62], s[4:5], -v[67:68]
	v_add_f64 v[41:42], v[69:70], v[41:42]
	v_fma_f64 v[61:62], v[61:62], s[4:5], v[67:68]
	v_mul_f64 v[57:58], v[57:58], s[26:27]
	v_mul_f64 v[98:99], v[59:60], s[14:15]
	v_add_f64 v[39:40], v[83:84], v[39:40]
	v_fma_f64 v[77:78], v[63:64], s[4:5], v[71:72]
	v_fma_f64 v[63:64], v[63:64], s[4:5], -v[71:72]
	v_mul_f64 v[59:60], v[59:60], s[26:27]
	v_add_f64 v[51:52], v[120:121], v[51:52]
	v_fma_f64 v[110:111], v[53:54], s[4:5], -v[100:101]
	v_add_f64 v[49:50], v[73:74], v[49:50]
	v_add_f64 v[69:70], v[45:46], v[75:76]
	v_fma_f64 v[45:46], v[53:54], s[4:5], v[100:101]
	v_add_f64 v[61:62], v[61:62], v[41:42]
	v_fma_f64 v[73:74], v[53:54], s[0:1], -v[57:58]
	v_fma_f64 v[53:54], v[53:54], s[0:1], v[57:58]
	v_add_f64 v[37:38], v[118:119], v[37:38]
	v_fma_f64 v[102:103], v[55:56], s[4:5], v[98:99]
	v_add_f64 v[67:68], v[77:78], v[39:40]
	v_add_f64 v[63:64], v[63:64], v[43:44]
	v_fma_f64 v[43:44], v[55:56], s[4:5], -v[98:99]
	v_fma_f64 v[71:72], v[55:56], s[0:1], v[59:60]
	v_fma_f64 v[55:56], v[55:56], s[0:1], -v[59:60]
	v_add_f64 v[39:40], v[110:111], v[51:52]
	v_add_f64 v[51:52], v[53:54], v[61:62]
	v_mov_b32_e32 v53, 0x1a0
	v_cmp_ne_u32_e64 s[0:1], 0, v0
	v_add_f64 v[37:38], v[102:103], v[37:38]
	v_cndmask_b32_e64 v0, 0, v53, s[0:1]
	v_add_f64 v[41:42], v[43:44], v[47:48]
	v_add_f64 v[43:44], v[45:46], v[49:50]
	;; [unrolled: 1-line block ×4, first 2 shown]
	v_lshl_add_u32 v53, v0, 4, 0
	s_movk_i32 s0, 0xd0
	v_add_f64 v[49:50], v[55:56], v[63:64]
	v_mad_u32_u24 v54, v87, s0, v53
	s_movk_i32 s0, 0xff40
	ds_write_b128 v54, v[5:8]
	ds_write_b128 v54, v[9:12] offset:16
	ds_write_b128 v54, v[13:16] offset:32
	;; [unrolled: 1-line block ×12, first 2 shown]
	v_lshl_add_u32 v61, v87, 4, v53
	v_mad_i32_i24 v67, v87, s0, v54
	v_lshl_add_u32 v37, v89, 4, v53
	v_lshl_add_u32 v17, v88, 4, v53
	;; [unrolled: 1-line block ×5, first 2 shown]
	s_waitcnt lgkmcnt(0)
	; wave barrier
	s_waitcnt lgkmcnt(0)
	ds_read_b128 v[5:8], v61
	ds_read_b128 v[9:12], v67 offset:3328
	ds_read_b128 v[13:16], v67 offset:3840
	;; [unrolled: 1-line block ×3, first 2 shown]
	ds_read_b128 v[17:20], v17
	ds_read_b128 v[25:28], v25
	ds_read_b128 v[29:32], v67 offset:4864
	ds_read_b128 v[33:36], v67 offset:5376
	ds_read_b128 v[57:60], v38
	ds_read_b128 v[53:56], v39
	;; [unrolled: 1-line block ×3, first 2 shown]
	ds_read_b128 v[37:40], v67 offset:5888
	s_movk_i32 s6, 0x1a0
	v_cmp_gt_u32_e64 s[0:1], 16, v87
	v_lshlrev_b32_e32 v62, 4, v0
                                        ; implicit-def: $vgpr43_vgpr44
	s_and_saveexec_b64 s[4:5], s[0:1]
	s_cbranch_execz .LBB0_15
; %bb.14:
	v_lshlrev_b32_e32 v0, 4, v93
	v_add3_u32 v0, 0, v0, v62
	ds_read_b128 v[1:4], v0
	ds_read_b128 v[41:44], v67 offset:6400
.LBB0_15:
	s_or_b64 exec, exec, s[4:5]
	s_movk_i32 s4, 0x4f
	v_mul_lo_u16_sdwa v63, v88, s4 dst_sel:DWORD dst_unused:UNUSED_PAD src0_sel:BYTE_0 src1_sel:DWORD
	v_lshrrev_b16_e32 v96, 10, v63
	v_mul_lo_u16_e32 v63, 13, v96
	v_mov_b32_e32 v64, 4
	v_sub_u16_e32 v63, v88, v63
	v_lshlrev_b32_sdwa v97, v64, v63 dst_sel:DWORD dst_unused:UNUSED_PAD src0_sel:DWORD src1_sel:BYTE_0
	v_mul_lo_u16_sdwa v63, v90, s4 dst_sel:DWORD dst_unused:UNUSED_PAD src0_sel:BYTE_0 src1_sel:DWORD
	v_lshrrev_b16_e32 v98, 10, v63
	v_mul_lo_u16_e32 v63, 13, v98
	v_sub_u16_e32 v63, v90, v63
	v_lshlrev_b32_sdwa v99, v64, v63 dst_sel:DWORD dst_unused:UNUSED_PAD src0_sel:DWORD src1_sel:BYTE_0
	v_mul_lo_u16_sdwa v63, v91, s4 dst_sel:DWORD dst_unused:UNUSED_PAD src0_sel:BYTE_0 src1_sel:DWORD
	v_lshrrev_b16_e32 v100, 10, v63
	v_mul_lo_u16_e32 v63, 13, v100
	v_mul_lo_u16_e32 v0, 20, v87
	v_sub_u16_e32 v63, v91, v63
	v_lshrrev_b16_e32 v0, 8, v0
	v_lshlrev_b32_sdwa v108, v64, v63 dst_sel:DWORD dst_unused:UNUSED_PAD src0_sel:DWORD src1_sel:BYTE_0
	v_mul_lo_u16_sdwa v63, v92, s4 dst_sel:DWORD dst_unused:UNUSED_PAD src0_sel:BYTE_0 src1_sel:DWORD
	v_mul_lo_u16_e32 v49, 13, v0
	v_lshrrev_b16_e32 v109, 10, v63
	v_sub_u16_e32 v49, v87, v49
	v_mul_lo_u16_e32 v63, 13, v109
	v_lshlrev_b32_sdwa v84, v64, v49 dst_sel:DWORD dst_unused:UNUSED_PAD src0_sel:DWORD src1_sel:BYTE_0
	v_mul_lo_u16_sdwa v49, v89, s4 dst_sel:DWORD dst_unused:UNUSED_PAD src0_sel:BYTE_0 src1_sel:DWORD
	v_sub_u16_e32 v63, v92, v63
	v_lshrrev_b16_e32 v85, 10, v49
	v_lshlrev_b32_sdwa v110, v64, v63 dst_sel:DWORD dst_unused:UNUSED_PAD src0_sel:DWORD src1_sel:BYTE_0
	v_mul_lo_u16_sdwa v63, v93, s4 dst_sel:DWORD dst_unused:UNUSED_PAD src0_sel:BYTE_0 src1_sel:DWORD
	v_mul_lo_u16_e32 v49, 13, v85
	v_lshrrev_b16_e32 v63, 10, v63
	v_sub_u16_e32 v49, v89, v49
	v_mul_lo_u16_e32 v92, 13, v63
	v_lshlrev_b32_sdwa v86, v64, v49 dst_sel:DWORD dst_unused:UNUSED_PAD src0_sel:DWORD src1_sel:BYTE_0
	global_load_dwordx4 v[49:52], v84, s[8:9]
	global_load_dwordx4 v[68:71], v86, s[8:9]
	;; [unrolled: 1-line block ×4, first 2 shown]
	v_sub_u16_e32 v92, v93, v92
	global_load_dwordx4 v[80:83], v108, s[8:9]
	global_load_dwordx4 v[88:91], v110, s[8:9]
	v_lshlrev_b32_sdwa v64, v64, v92 dst_sel:DWORD dst_unused:UNUSED_PAD src0_sel:DWORD src1_sel:BYTE_0
	global_load_dwordx4 v[92:95], v64, s[8:9]
	v_mad_u32_u24 v0, v0, s6, 0
	v_mad_u32_u24 v85, v85, s6, 0
	;; [unrolled: 1-line block ×4, first 2 shown]
	v_add3_u32 v112, v0, v84, v62
	v_add3_u32 v86, v85, v86, v62
	;; [unrolled: 1-line block ×3, first 2 shown]
	v_mad_u32_u24 v98, v98, s6, 0
	v_add3_u32 v114, v98, v99, v62
	s_waitcnt lgkmcnt(0)
	; wave barrier
	s_waitcnt vmcnt(6) lgkmcnt(0)
	v_mul_f64 v[84:85], v[11:12], v[51:52]
	v_mul_f64 v[51:52], v[9:10], v[51:52]
	s_waitcnt vmcnt(5)
	v_mul_f64 v[96:97], v[15:16], v[70:71]
	v_mul_f64 v[70:71], v[13:14], v[70:71]
	s_waitcnt vmcnt(3)
	;; [unrolled: 3-line block ×3, first 2 shown]
	v_mul_f64 v[102:103], v[35:36], v[82:83]
	v_mul_f64 v[82:83], v[33:34], v[82:83]
	;; [unrolled: 1-line block ×4, first 2 shown]
	s_waitcnt vmcnt(1)
	v_mul_f64 v[104:105], v[39:40], v[90:91]
	v_mul_f64 v[90:91], v[37:38], v[90:91]
	s_waitcnt vmcnt(0)
	v_mul_f64 v[106:107], v[43:44], v[94:95]
	v_mul_f64 v[94:95], v[41:42], v[94:95]
	v_fma_f64 v[9:10], v[9:10], v[49:50], v[84:85]
	v_fma_f64 v[11:12], v[11:12], v[49:50], -v[51:52]
	v_fma_f64 v[13:14], v[13:14], v[68:69], v[96:97]
	v_fma_f64 v[15:16], v[15:16], v[68:69], -v[70:71]
	;; [unrolled: 2-line block ×7, first 2 shown]
	v_add_f64 v[9:10], v[5:6], -v[9:10]
	v_add_f64 v[11:12], v[7:8], -v[11:12]
	v_add_f64 v[33:34], v[25:26], -v[29:30]
	v_add_f64 v[35:36], v[27:28], -v[31:32]
	v_add_f64 v[29:30], v[57:58], -v[68:69]
	v_add_f64 v[31:32], v[59:60], -v[70:71]
	v_add_f64 v[21:22], v[45:46], -v[13:14]
	v_add_f64 v[23:24], v[47:48], -v[15:16]
	v_add_f64 v[13:14], v[17:18], -v[49:50]
	v_add_f64 v[15:16], v[19:20], -v[51:52]
	v_add_f64 v[41:42], v[53:54], -v[37:38]
	v_add_f64 v[43:44], v[55:56], -v[39:40]
	v_add_f64 v[37:38], v[1:2], -v[72:73]
	v_add_f64 v[39:40], v[3:4], -v[74:75]
	v_fma_f64 v[5:6], v[5:6], 2.0, -v[9:10]
	v_fma_f64 v[7:8], v[7:8], 2.0, -v[11:12]
	;; [unrolled: 1-line block ×14, first 2 shown]
	v_add3_u32 v4, v111, v108, v62
	ds_write_b128 v112, v[9:12] offset:208
	ds_write_b128 v112, v[5:8]
	ds_write_b128 v86, v[21:24] offset:208
	ds_write_b128 v86, v[45:48]
	ds_write_b128 v113, v[17:20]
	ds_write_b128 v113, v[13:16] offset:208
	ds_write_b128 v114, v[49:52]
	ds_write_b128 v114, v[33:36] offset:208
	;; [unrolled: 2-line block ×3, first 2 shown]
	v_mad_u32_u24 v4, v109, s6, 0
	v_add3_u32 v4, v4, v110, v62
	ds_write_b128 v4, v[53:56]
	ds_write_b128 v4, v[41:44] offset:208
	s_and_saveexec_b64 s[4:5], s[0:1]
	s_cbranch_execz .LBB0_17
; %bb.16:
	s_movk_i32 s0, 0x1a0
	v_mad_u32_u24 v4, v63, s0, 0
	v_add3_u32 v4, v4, v64, v62
	ds_write_b128 v4, v[0:3]
	ds_write_b128 v4, v[37:40] offset:208
.LBB0_17:
	s_or_b64 exec, exec, s[4:5]
	v_cmp_gt_u32_e64 s[0:1], 26, v87
	s_waitcnt lgkmcnt(0)
	; wave barrier
	s_waitcnt lgkmcnt(0)
                                        ; implicit-def: $vgpr63_vgpr64
                                        ; implicit-def: $vgpr59_vgpr60
	s_and_saveexec_b64 s[4:5], s[0:1]
	s_cbranch_execnz .LBB0_20
; %bb.18:
	s_or_b64 exec, exec, s[4:5]
	s_and_b64 s[0:1], vcc, s[0:1]
	s_and_saveexec_b64 s[4:5], s[0:1]
	s_cbranch_execnz .LBB0_21
.LBB0_19:
	s_endpgm
.LBB0_20:
	ds_read_b128 v[5:8], v61
	ds_read_b128 v[9:12], v67 offset:416
	ds_read_b128 v[45:48], v67 offset:832
	ds_read_b128 v[21:24], v67 offset:1248
	ds_read_b128 v[17:20], v67 offset:1664
	ds_read_b128 v[13:16], v67 offset:2080
	ds_read_b128 v[49:52], v67 offset:2496
	ds_read_b128 v[33:36], v67 offset:2912
	ds_read_b128 v[25:28], v67 offset:3328
	ds_read_b128 v[29:32], v67 offset:3744
	ds_read_b128 v[53:56], v67 offset:4160
	ds_read_b128 v[41:44], v67 offset:4576
	ds_read_b128 v[0:3], v67 offset:4992
	ds_read_b128 v[37:40], v67 offset:5408
	ds_read_b128 v[61:64], v67 offset:5824
	ds_read_b128 v[57:60], v67 offset:6240
	s_or_b64 exec, exec, s[4:5]
	s_and_b64 s[0:1], vcc, s[0:1]
	s_and_saveexec_b64 s[4:5], s[0:1]
	s_cbranch_execz .LBB0_19
.LBB0_21:
	v_mul_u32_u24_e32 v4, 15, v87
	v_lshlrev_b32_e32 v4, 4, v4
	global_load_dwordx4 v[67:70], v4, s[8:9] offset:224
	global_load_dwordx4 v[71:74], v4, s[8:9] offset:352
	;; [unrolled: 1-line block ×12, first 2 shown]
	s_mov_b32 s0, 0x667f3bcd
	s_mov_b32 s1, 0x3fe6a09e
	;; [unrolled: 1-line block ×9, first 2 shown]
	s_waitcnt vmcnt(11) lgkmcnt(13)
	v_mul_f64 v[116:117], v[45:46], v[69:70]
	v_mul_f64 v[69:70], v[47:48], v[69:70]
	s_waitcnt vmcnt(10) lgkmcnt(5)
	v_mul_f64 v[118:119], v[53:54], v[73:74]
	v_mul_f64 v[73:74], v[55:56], v[73:74]
	v_fma_f64 v[116:117], v[47:48], v[67:68], -v[116:117]
	v_fma_f64 v[120:121], v[45:46], v[67:68], v[69:70]
	global_load_dwordx4 v[45:48], v4, s[8:9] offset:272
	global_load_dwordx4 v[67:70], v4, s[8:9] offset:432
	v_fma_f64 v[118:119], v[55:56], v[71:72], -v[118:119]
	v_fma_f64 v[71:72], v[53:54], v[71:72], v[73:74]
	global_load_dwordx4 v[53:56], v4, s[8:9] offset:400
	s_waitcnt vmcnt(12)
	v_mul_f64 v[73:74], v[51:52], v[77:78]
	v_mul_f64 v[77:78], v[49:50], v[77:78]
	s_mov_b32 s8, 0xcf328d46
	s_mov_b32 s9, 0x3fed906b
	;; [unrolled: 1-line block ×3, first 2 shown]
	v_fma_f64 v[49:50], v[49:50], v[75:76], v[73:74]
	v_fma_f64 v[51:52], v[51:52], v[75:76], -v[77:78]
	s_waitcnt vmcnt(11) lgkmcnt(1)
	v_mul_f64 v[73:74], v[63:64], v[81:82]
	v_mul_f64 v[75:76], v[61:62], v[81:82]
	s_waitcnt vmcnt(10)
	v_mul_f64 v[77:78], v[21:22], v[85:86]
	v_mul_f64 v[81:82], v[23:24], v[85:86]
	s_waitcnt vmcnt(6)
	v_mul_f64 v[85:86], v[43:44], v[102:103]
	v_fma_f64 v[61:62], v[61:62], v[79:80], v[73:74]
	v_fma_f64 v[63:64], v[63:64], v[79:80], -v[75:76]
	v_mul_f64 v[79:80], v[41:42], v[102:103]
	v_fma_f64 v[23:24], v[23:24], v[83:84], -v[77:78]
	v_fma_f64 v[21:22], v[21:22], v[83:84], v[81:82]
	s_waitcnt vmcnt(3)
	v_mul_f64 v[83:84], v[35:36], v[114:115]
	v_mul_f64 v[102:103], v[33:34], v[114:115]
	v_fma_f64 v[41:42], v[41:42], v[100:101], v[85:86]
	v_mul_f64 v[73:74], v[25:26], v[94:95]
	v_mul_f64 v[75:76], v[19:20], v[90:91]
	v_fma_f64 v[43:44], v[43:44], v[100:101], -v[79:80]
	v_mul_f64 v[77:78], v[2:3], v[106:107]
	v_mul_f64 v[81:82], v[9:10], v[98:99]
	;; [unrolled: 1-line block ×3, first 2 shown]
	v_fma_f64 v[33:34], v[33:34], v[112:113], v[83:84]
	v_fma_f64 v[35:36], v[35:36], v[112:113], -v[102:103]
	v_mul_f64 v[98:99], v[11:12], v[98:99]
	v_mul_f64 v[102:103], v[31:32], v[110:111]
	v_add_f64 v[43:44], v[23:24], -v[43:44]
	v_add_f64 v[41:42], v[21:22], -v[41:42]
	v_fma_f64 v[11:12], v[11:12], v[96:97], -v[81:82]
	v_fma_f64 v[31:32], v[31:32], v[108:109], -v[79:80]
	v_fma_f64 v[9:10], v[9:10], v[96:97], v[98:99]
	v_fma_f64 v[29:30], v[29:30], v[108:109], v[102:103]
	v_fma_f64 v[23:24], v[23:24], 2.0, -v[43:44]
	v_fma_f64 v[21:22], v[21:22], 2.0, -v[41:42]
	v_add_f64 v[31:32], v[11:12], -v[31:32]
	v_add_f64 v[29:30], v[9:10], -v[29:30]
	v_fma_f64 v[81:82], v[11:12], 2.0, -v[31:32]
	s_waitcnt vmcnt(2)
	v_mul_f64 v[85:86], v[15:16], v[47:48]
	s_waitcnt vmcnt(1) lgkmcnt(0)
	v_mul_f64 v[100:101], v[59:60], v[69:70]
	v_mul_f64 v[69:70], v[57:58], v[69:70]
	v_mul_f64 v[47:48], v[13:14], v[47:48]
	s_waitcnt vmcnt(0)
	v_mul_f64 v[83:84], v[39:40], v[55:56]
	v_mul_f64 v[55:56], v[37:38], v[55:56]
	v_fma_f64 v[13:14], v[13:14], v[45:46], v[85:86]
	v_fma_f64 v[57:58], v[57:58], v[67:68], v[100:101]
	v_fma_f64 v[59:60], v[59:60], v[67:68], -v[69:70]
	v_mul_f64 v[67:68], v[17:18], v[90:91]
	v_mul_f64 v[69:70], v[0:1], v[106:107]
	;; [unrolled: 1-line block ×3, first 2 shown]
	v_fma_f64 v[27:28], v[27:28], v[92:93], -v[73:74]
	v_fma_f64 v[17:18], v[17:18], v[88:89], v[75:76]
	v_fma_f64 v[0:1], v[0:1], v[104:105], v[77:78]
	;; [unrolled: 1-line block ×3, first 2 shown]
	v_fma_f64 v[15:16], v[15:16], v[45:46], -v[47:48]
	v_fma_f64 v[39:40], v[39:40], v[53:54], -v[55:56]
	;; [unrolled: 1-line block ×4, first 2 shown]
	v_fma_f64 v[25:26], v[25:26], v[92:93], v[90:91]
	v_add_f64 v[45:46], v[116:117], -v[118:119]
	v_add_f64 v[47:48], v[49:50], -v[61:62]
	;; [unrolled: 1-line block ×16, first 2 shown]
	v_add_f64 v[73:74], v[41:42], v[59:60]
	v_add_f64 v[75:76], v[29:30], v[39:40]
	v_add_f64 v[77:78], v[25:26], v[2:3]
	v_fma_f64 v[79:80], v[7:8], 2.0, -v[27:28]
	v_fma_f64 v[2:3], v[19:20], 2.0, -v[2:3]
	;; [unrolled: 1-line block ×4, first 2 shown]
	v_add_f64 v[67:68], v[53:54], v[55:56]
	v_fma_f64 v[47:48], v[61:62], s[0:1], v[63:64]
	v_fma_f64 v[49:50], v[71:72], s[0:1], v[69:70]
	v_fma_f64 v[11:12], v[15:16], 2.0, -v[39:40]
	v_fma_f64 v[15:16], v[33:34], 2.0, -v[57:58]
	;; [unrolled: 1-line block ×3, first 2 shown]
	v_fma_f64 v[9:10], v[73:74], s[0:1], v[75:76]
	v_fma_f64 v[13:14], v[13:14], 2.0, -v[37:38]
	v_add_f64 v[57:58], v[19:20], -v[7:8]
	v_fma_f64 v[88:89], v[116:117], 2.0, -v[45:46]
	v_fma_f64 v[7:8], v[51:52], 2.0, -v[55:56]
	v_fma_f64 v[39:40], v[67:68], s[4:5], v[47:48]
	v_fma_f64 v[47:48], v[73:74], s[4:5], v[49:50]
	;; [unrolled: 1-line block ×3, first 2 shown]
	v_fma_f64 v[35:36], v[35:36], 2.0, -v[59:60]
	v_add_f64 v[37:38], v[79:80], -v[2:3]
	v_fma_f64 v[59:60], v[71:72], s[0:1], v[9:10]
	v_add_f64 v[83:84], v[81:82], -v[11:12]
	v_add_f64 v[85:86], v[21:22], -v[15:16]
	v_fma_f64 v[51:52], v[5:6], 2.0, -v[25:26]
	v_fma_f64 v[0:1], v[17:18], 2.0, -v[0:1]
	v_add_f64 v[92:93], v[33:34], -v[13:14]
	v_add_f64 v[16:17], v[88:89], -v[7:8]
	v_fma_f64 v[94:95], v[27:28], 2.0, -v[63:64]
	v_fma_f64 v[8:9], v[45:46], 2.0, -v[61:62]
	;; [unrolled: 1-line block ×8, first 2 shown]
	v_fma_f64 v[2:3], v[47:48], s[8:9], v[39:40]
	v_fma_f64 v[49:50], v[61:62], s[0:1], v[49:50]
	v_add_f64 v[55:56], v[37:38], -v[57:58]
	v_add_f64 v[90:91], v[83:84], -v[85:86]
	;; [unrolled: 1-line block ×4, first 2 shown]
	v_fma_f64 v[25:26], v[8:9], s[4:5], v[94:95]
	v_fma_f64 v[29:30], v[14:15], s[4:5], v[45:46]
	;; [unrolled: 1-line block ×7, first 2 shown]
	v_add_f64 v[53:54], v[92:93], v[12:13]
	v_add_f64 v[61:62], v[16:17], v[35:36]
	v_fma_f64 v[71:72], v[10:11], s[4:5], v[25:26]
	v_fma_f64 v[28:29], v[27:28], s[4:5], v[29:30]
	v_fma_f64 v[73:74], v[14:15], s[0:1], v[31:32]
	v_fma_f64 v[67:68], v[8:9], s[0:1], v[67:68]
	v_fma_f64 v[0:1], v[47:48], s[10:11], v[4:5]
	v_fma_f64 v[10:11], v[39:40], 2.0, -v[2:3]
	v_fma_f64 v[6:7], v[53:54], s[4:5], v[6:7]
	v_fma_f64 v[4:5], v[53:54], s[0:1], v[61:62]
	v_fma_f64 v[79:80], v[79:80], 2.0, -v[37:38]
	v_fma_f64 v[25:26], v[28:29], s[10:11], v[71:72]
	v_fma_f64 v[88:89], v[88:89], 2.0, -v[16:17]
	;; [unrolled: 2-line block ×3, first 2 shown]
	v_fma_f64 v[21:22], v[21:22], 2.0, -v[85:86]
	v_fma_f64 v[51:52], v[51:52], 2.0, -v[35:36]
	;; [unrolled: 1-line block ×7, first 2 shown]
	v_fma_f64 v[4:5], v[90:91], s[0:1], v[4:5]
	v_fma_f64 v[57:58], v[81:82], 2.0, -v[83:84]
	v_fma_f64 v[12:13], v[23:24], 2.0, -v[12:13]
	v_fma_f64 v[18:19], v[73:74], s[14:15], v[25:26]
	v_fma_f64 v[16:17], v[28:29], s[8:9], v[30:31]
	v_add_f64 v[63:64], v[79:80], -v[88:89]
	v_add_f64 v[69:70], v[96:97], -v[21:22]
	;; [unrolled: 1-line block ×3, first 2 shown]
	v_fma_f64 v[30:31], v[47:48], s[6:7], v[39:40]
	v_fma_f64 v[32:33], v[75:76], 2.0, -v[59:60]
	v_fma_f64 v[49:50], v[77:78], 2.0, -v[49:50]
	;; [unrolled: 1-line block ×4, first 2 shown]
	v_add_f64 v[85:86], v[57:58], -v[12:13]
	v_fma_f64 v[12:13], v[61:62], 2.0, -v[4:5]
	v_fma_f64 v[22:23], v[71:72], 2.0, -v[18:19]
	;; [unrolled: 1-line block ×3, first 2 shown]
	v_add_f64 v[26:27], v[63:64], -v[69:70]
	v_fma_f64 v[30:31], v[32:33], s[14:15], v[30:31]
	v_fma_f64 v[37:38], v[32:33], s[6:7], v[49:50]
	;; [unrolled: 1-line block ×3, first 2 shown]
	v_fma_f64 v[53:54], v[92:93], 2.0, -v[53:54]
	v_fma_f64 v[61:62], v[35:36], 2.0, -v[61:62]
	;; [unrolled: 1-line block ×7, first 2 shown]
	v_fma_f64 v[28:29], v[47:48], s[8:9], v[37:38]
	v_fma_f64 v[38:39], v[39:40], 2.0, -v[30:31]
	v_fma_f64 v[42:43], v[53:54], s[4:5], v[75:76]
	v_fma_f64 v[40:41], v[53:54], s[4:5], v[61:62]
	;; [unrolled: 1-line block ×3, first 2 shown]
	v_fma_f64 v[63:64], v[79:80], 2.0, -v[63:64]
	v_fma_f64 v[53:54], v[45:46], s[14:15], v[67:68]
	v_fma_f64 v[57:58], v[57:58], 2.0, -v[85:86]
	v_fma_f64 v[73:74], v[51:52], 2.0, -v[81:82]
	;; [unrolled: 1-line block ×4, first 2 shown]
	v_fma_f64 v[40:41], v[59:60], s[0:1], v[40:41]
	v_fma_f64 v[46:47], v[45:46], s[6:7], v[47:48]
	v_fma_f64 v[50:51], v[55:56], 2.0, -v[42:43]
	v_fma_f64 v[44:45], v[77:78], s[10:11], v[53:54]
	v_add_f64 v[54:55], v[63:64], -v[57:58]
	v_mad_u64_u32 v[75:76], s[0:1], s2, v87, 0
	v_add_f64 v[52:53], v[73:74], -v[69:70]
	v_fma_f64 v[48:49], v[61:62], 2.0, -v[40:41]
	v_mov_b32_e32 v56, v76
	v_mad_u64_u32 v[69:70], s[0:1], s3, v87, v[56:57]
	v_fma_f64 v[62:63], v[63:64], 2.0, -v[54:55]
	v_mov_b32_e32 v64, s13
	v_mov_b32_e32 v76, v69
	v_fma_f64 v[60:61], v[73:74], 2.0, -v[52:53]
	v_add_u32_e32 v69, 26, v87
	v_add_co_u32_e32 v70, vcc, s12, v65
	v_fma_f64 v[58:59], v[71:72], 2.0, -v[46:47]
	v_fma_f64 v[56:57], v[67:68], 2.0, -v[44:45]
	v_mad_u64_u32 v[67:68], s[0:1], s2, v69, 0
	v_addc_co_u32_e32 v71, vcc, v64, v66, vcc
	v_lshlrev_b64 v[64:65], 4, v[75:76]
	v_mov_b32_e32 v66, v68
	v_add_co_u32_e32 v64, vcc, v70, v64
	v_addc_co_u32_e32 v65, vcc, v71, v65, vcc
	global_store_dwordx4 v[64:65], v[60:63], off
	v_add_u32_e32 v64, 52, v87
	v_mad_u64_u32 v[68:69], s[0:1], s3, v69, v[66:67]
	v_mad_u64_u32 v[62:63], s[0:1], s2, v64, 0
	v_lshlrev_b64 v[60:61], 4, v[67:68]
	v_add_u32_e32 v66, 0x4e, v87
	v_mad_u64_u32 v[63:64], s[0:1], s3, v64, v[63:64]
	v_add_co_u32_e32 v60, vcc, v70, v60
	v_addc_co_u32_e32 v61, vcc, v71, v61, vcc
	v_mad_u64_u32 v[64:65], s[0:1], s2, v66, 0
	global_store_dwordx4 v[60:61], v[56:59], off
	v_add_f64 v[24:25], v[81:82], v[85:86]
	v_lshlrev_b64 v[56:57], 4, v[62:63]
	v_mov_b32_e32 v58, v65
	v_add_co_u32_e32 v56, vcc, v70, v56
	v_addc_co_u32_e32 v57, vcc, v71, v57, vcc
	global_store_dwordx4 v[56:57], v[48:51], off
	v_add_u32_e32 v56, 0x68, v87
	v_mad_u64_u32 v[58:59], s[0:1], s3, v66, v[58:59]
	v_mad_u64_u32 v[50:51], s[0:1], s2, v56, 0
	v_mov_b32_e32 v65, v58
	v_fma_f64 v[32:33], v[81:82], 2.0, -v[24:25]
	v_mad_u64_u32 v[56:57], s[0:1], s3, v56, v[51:52]
	v_lshlrev_b64 v[48:49], 4, v[64:65]
	v_add_u32_e32 v59, 0x82, v87
	v_add_co_u32_e32 v48, vcc, v70, v48
	v_addc_co_u32_e32 v49, vcc, v71, v49, vcc
	v_mad_u64_u32 v[57:58], s[0:1], s2, v59, 0
	v_mov_b32_e32 v51, v56
	global_store_dwordx4 v[48:49], v[36:39], off
	s_nop 0
	v_lshlrev_b64 v[36:37], 4, v[50:51]
	v_mov_b32_e32 v38, v58
	v_add_co_u32_e32 v36, vcc, v70, v36
	v_addc_co_u32_e32 v37, vcc, v71, v37, vcc
	v_mad_u64_u32 v[38:39], s[0:1], s3, v59, v[38:39]
	global_store_dwordx4 v[36:37], v[32:35], off
	v_add_u32_e32 v36, 0x9c, v87
	v_mad_u64_u32 v[34:35], s[0:1], s2, v36, 0
	v_mov_b32_e32 v58, v38
	v_lshlrev_b64 v[32:33], 4, v[57:58]
	v_mad_u64_u32 v[35:36], s[0:1], s3, v36, v[35:36]
	v_add_co_u32_e32 v32, vcc, v70, v32
	v_addc_co_u32_e32 v33, vcc, v71, v33, vcc
	v_add_u32_e32 v38, 0xb6, v87
	v_mad_u64_u32 v[36:37], s[0:1], s2, v38, 0
	global_store_dwordx4 v[32:33], v[20:23], off
	s_nop 0
	v_lshlrev_b64 v[20:21], 4, v[34:35]
	v_mov_b32_e32 v22, v37
	v_add_co_u32_e32 v20, vcc, v70, v20
	v_addc_co_u32_e32 v21, vcc, v71, v21, vcc
	global_store_dwordx4 v[20:21], v[12:15], off
	v_add_u32_e32 v20, 0xd0, v87
	v_mad_u64_u32 v[22:23], s[0:1], s3, v38, v[22:23]
	v_mad_u64_u32 v[14:15], s[0:1], s2, v20, 0
	v_mov_b32_e32 v37, v22
	v_add_u32_e32 v23, 0xea, v87
	v_mad_u64_u32 v[20:21], s[0:1], s3, v20, v[15:16]
	v_lshlrev_b64 v[12:13], 4, v[36:37]
	v_mad_u64_u32 v[21:22], s[0:1], s2, v23, 0
	v_add_co_u32_e32 v12, vcc, v70, v12
	v_addc_co_u32_e32 v13, vcc, v71, v13, vcc
	global_store_dwordx4 v[12:13], v[8:11], off
	v_add_u32_e32 v12, 0x104, v87
	v_mov_b32_e32 v10, v22
	v_mad_u64_u32 v[10:11], s[0:1], s3, v23, v[10:11]
	v_mov_b32_e32 v15, v20
	v_lshlrev_b64 v[8:9], 4, v[14:15]
	v_mov_b32_e32 v22, v10
	v_mad_u64_u32 v[10:11], s[0:1], s2, v12, 0
	v_add_co_u32_e32 v8, vcc, v70, v8
	v_addc_co_u32_e32 v9, vcc, v71, v9, vcc
	v_mad_u64_u32 v[11:12], s[0:1], s3, v12, v[11:12]
	v_add_u32_e32 v14, 0x11e, v87
	global_store_dwordx4 v[8:9], v[52:55], off
	v_lshlrev_b64 v[8:9], 4, v[21:22]
	v_mad_u64_u32 v[12:13], s[0:1], s2, v14, 0
	v_add_co_u32_e32 v8, vcc, v70, v8
	v_addc_co_u32_e32 v9, vcc, v71, v9, vcc
	global_store_dwordx4 v[8:9], v[44:47], off
	v_lshlrev_b64 v[8:9], 4, v[10:11]
	v_mov_b32_e32 v10, v13
	v_mad_u64_u32 v[10:11], s[0:1], s3, v14, v[10:11]
	v_add_co_u32_e32 v8, vcc, v70, v8
	v_addc_co_u32_e32 v9, vcc, v71, v9, vcc
	v_mov_b32_e32 v13, v10
	global_store_dwordx4 v[8:9], v[40:43], off
	v_lshlrev_b64 v[8:9], 4, v[12:13]
	v_add_u32_e32 v12, 0x138, v87
	v_mad_u64_u32 v[10:11], s[0:1], s2, v12, 0
	v_add_u32_e32 v14, 0x152, v87
	v_add_co_u32_e32 v8, vcc, v70, v8
	v_mad_u64_u32 v[11:12], s[0:1], s3, v12, v[11:12]
	v_mad_u64_u32 v[12:13], s[0:1], s2, v14, 0
	v_addc_co_u32_e32 v9, vcc, v71, v9, vcc
	global_store_dwordx4 v[8:9], v[28:31], off
	v_lshlrev_b64 v[8:9], 4, v[10:11]
	v_mov_b32_e32 v10, v13
	v_mad_u64_u32 v[10:11], s[0:1], s3, v14, v[10:11]
	v_add_co_u32_e32 v8, vcc, v70, v8
	v_addc_co_u32_e32 v9, vcc, v71, v9, vcc
	v_mov_b32_e32 v13, v10
	global_store_dwordx4 v[8:9], v[24:27], off
	v_lshlrev_b64 v[8:9], 4, v[12:13]
	v_add_u32_e32 v12, 0x16c, v87
	v_mad_u64_u32 v[10:11], s[0:1], s2, v12, 0
	v_add_u32_e32 v14, 0x186, v87
	v_add_co_u32_e32 v8, vcc, v70, v8
	v_mad_u64_u32 v[11:12], s[0:1], s3, v12, v[11:12]
	v_mad_u64_u32 v[12:13], s[0:1], s2, v14, 0
	v_addc_co_u32_e32 v9, vcc, v71, v9, vcc
	global_store_dwordx4 v[8:9], v[16:19], off
	v_lshlrev_b64 v[8:9], 4, v[10:11]
	v_mov_b32_e32 v10, v13
	v_mad_u64_u32 v[10:11], s[0:1], s3, v14, v[10:11]
	v_add_co_u32_e32 v8, vcc, v70, v8
	v_addc_co_u32_e32 v9, vcc, v71, v9, vcc
	v_mov_b32_e32 v13, v10
	global_store_dwordx4 v[8:9], v[4:7], off
	s_nop 0
	v_lshlrev_b64 v[4:5], 4, v[12:13]
	v_add_co_u32_e32 v4, vcc, v70, v4
	v_addc_co_u32_e32 v5, vcc, v71, v5, vcc
	global_store_dwordx4 v[4:5], v[0:3], off
	s_endpgm
	.section	.rodata,"a",@progbits
	.p2align	6, 0x0
	.amdhsa_kernel fft_rtc_back_len416_factors_13_2_16_wgs_64_tpt_32_dp_ip_CI_sbrr_dirReg
		.amdhsa_group_segment_fixed_size 0
		.amdhsa_private_segment_fixed_size 0
		.amdhsa_kernarg_size 88
		.amdhsa_user_sgpr_count 6
		.amdhsa_user_sgpr_private_segment_buffer 1
		.amdhsa_user_sgpr_dispatch_ptr 0
		.amdhsa_user_sgpr_queue_ptr 0
		.amdhsa_user_sgpr_kernarg_segment_ptr 1
		.amdhsa_user_sgpr_dispatch_id 0
		.amdhsa_user_sgpr_flat_scratch_init 0
		.amdhsa_user_sgpr_private_segment_size 0
		.amdhsa_uses_dynamic_stack 0
		.amdhsa_system_sgpr_private_segment_wavefront_offset 0
		.amdhsa_system_sgpr_workgroup_id_x 1
		.amdhsa_system_sgpr_workgroup_id_y 0
		.amdhsa_system_sgpr_workgroup_id_z 0
		.amdhsa_system_sgpr_workgroup_info 0
		.amdhsa_system_vgpr_workitem_id 0
		.amdhsa_next_free_vgpr 130
		.amdhsa_next_free_sgpr 38
		.amdhsa_reserve_vcc 1
		.amdhsa_reserve_flat_scratch 0
		.amdhsa_float_round_mode_32 0
		.amdhsa_float_round_mode_16_64 0
		.amdhsa_float_denorm_mode_32 3
		.amdhsa_float_denorm_mode_16_64 3
		.amdhsa_dx10_clamp 1
		.amdhsa_ieee_mode 1
		.amdhsa_fp16_overflow 0
		.amdhsa_exception_fp_ieee_invalid_op 0
		.amdhsa_exception_fp_denorm_src 0
		.amdhsa_exception_fp_ieee_div_zero 0
		.amdhsa_exception_fp_ieee_overflow 0
		.amdhsa_exception_fp_ieee_underflow 0
		.amdhsa_exception_fp_ieee_inexact 0
		.amdhsa_exception_int_div_zero 0
	.end_amdhsa_kernel
	.text
.Lfunc_end0:
	.size	fft_rtc_back_len416_factors_13_2_16_wgs_64_tpt_32_dp_ip_CI_sbrr_dirReg, .Lfunc_end0-fft_rtc_back_len416_factors_13_2_16_wgs_64_tpt_32_dp_ip_CI_sbrr_dirReg
                                        ; -- End function
	.section	.AMDGPU.csdata,"",@progbits
; Kernel info:
; codeLenInByte = 9812
; NumSgprs: 42
; NumVgprs: 130
; ScratchSize: 0
; MemoryBound: 1
; FloatMode: 240
; IeeeMode: 1
; LDSByteSize: 0 bytes/workgroup (compile time only)
; SGPRBlocks: 5
; VGPRBlocks: 32
; NumSGPRsForWavesPerEU: 42
; NumVGPRsForWavesPerEU: 130
; Occupancy: 1
; WaveLimiterHint : 1
; COMPUTE_PGM_RSRC2:SCRATCH_EN: 0
; COMPUTE_PGM_RSRC2:USER_SGPR: 6
; COMPUTE_PGM_RSRC2:TRAP_HANDLER: 0
; COMPUTE_PGM_RSRC2:TGID_X_EN: 1
; COMPUTE_PGM_RSRC2:TGID_Y_EN: 0
; COMPUTE_PGM_RSRC2:TGID_Z_EN: 0
; COMPUTE_PGM_RSRC2:TIDIG_COMP_CNT: 0
	.type	__hip_cuid_8c79b0e0ca5a03fb,@object ; @__hip_cuid_8c79b0e0ca5a03fb
	.section	.bss,"aw",@nobits
	.globl	__hip_cuid_8c79b0e0ca5a03fb
__hip_cuid_8c79b0e0ca5a03fb:
	.byte	0                               ; 0x0
	.size	__hip_cuid_8c79b0e0ca5a03fb, 1

	.ident	"AMD clang version 19.0.0git (https://github.com/RadeonOpenCompute/llvm-project roc-6.4.0 25133 c7fe45cf4b819c5991fe208aaa96edf142730f1d)"
	.section	".note.GNU-stack","",@progbits
	.addrsig
	.addrsig_sym __hip_cuid_8c79b0e0ca5a03fb
	.amdgpu_metadata
---
amdhsa.kernels:
  - .args:
      - .actual_access:  read_only
        .address_space:  global
        .offset:         0
        .size:           8
        .value_kind:     global_buffer
      - .offset:         8
        .size:           8
        .value_kind:     by_value
      - .actual_access:  read_only
        .address_space:  global
        .offset:         16
        .size:           8
        .value_kind:     global_buffer
      - .actual_access:  read_only
        .address_space:  global
        .offset:         24
        .size:           8
        .value_kind:     global_buffer
      - .offset:         32
        .size:           8
        .value_kind:     by_value
      - .actual_access:  read_only
        .address_space:  global
        .offset:         40
        .size:           8
        .value_kind:     global_buffer
      - .actual_access:  read_only
        .address_space:  global
        .offset:         48
        .size:           8
        .value_kind:     global_buffer
      - .offset:         56
        .size:           4
        .value_kind:     by_value
      - .actual_access:  read_only
        .address_space:  global
        .offset:         64
        .size:           8
        .value_kind:     global_buffer
      - .actual_access:  read_only
        .address_space:  global
        .offset:         72
        .size:           8
        .value_kind:     global_buffer
      - .address_space:  global
        .offset:         80
        .size:           8
        .value_kind:     global_buffer
    .group_segment_fixed_size: 0
    .kernarg_segment_align: 8
    .kernarg_segment_size: 88
    .language:       OpenCL C
    .language_version:
      - 2
      - 0
    .max_flat_workgroup_size: 64
    .name:           fft_rtc_back_len416_factors_13_2_16_wgs_64_tpt_32_dp_ip_CI_sbrr_dirReg
    .private_segment_fixed_size: 0
    .sgpr_count:     42
    .sgpr_spill_count: 0
    .symbol:         fft_rtc_back_len416_factors_13_2_16_wgs_64_tpt_32_dp_ip_CI_sbrr_dirReg.kd
    .uniform_work_group_size: 1
    .uses_dynamic_stack: false
    .vgpr_count:     130
    .vgpr_spill_count: 0
    .wavefront_size: 64
amdhsa.target:   amdgcn-amd-amdhsa--gfx906
amdhsa.version:
  - 1
  - 2
...

	.end_amdgpu_metadata
